;; amdgpu-corpus repo=ROCm/rocFFT kind=compiled arch=gfx906 opt=O3
	.text
	.amdgcn_target "amdgcn-amd-amdhsa--gfx906"
	.amdhsa_code_object_version 6
	.protected	fft_rtc_fwd_len49_factors_7_7_wgs_196_tpt_7_sp_op_CI_CI_sbrc_aligned_dirReg ; -- Begin function fft_rtc_fwd_len49_factors_7_7_wgs_196_tpt_7_sp_op_CI_CI_sbrc_aligned_dirReg
	.globl	fft_rtc_fwd_len49_factors_7_7_wgs_196_tpt_7_sp_op_CI_CI_sbrc_aligned_dirReg
	.p2align	8
	.type	fft_rtc_fwd_len49_factors_7_7_wgs_196_tpt_7_sp_op_CI_CI_sbrc_aligned_dirReg,@function
fft_rtc_fwd_len49_factors_7_7_wgs_196_tpt_7_sp_op_CI_CI_sbrc_aligned_dirReg: ; @fft_rtc_fwd_len49_factors_7_7_wgs_196_tpt_7_sp_op_CI_CI_sbrc_aligned_dirReg
; %bb.0:
	s_load_dwordx8 s[8:15], s[4:5], 0x0
	s_mov_b32 s30, 0
	s_mov_b64 s[36:37], 2
	s_waitcnt lgkmcnt(0)
	s_load_dword s0, s[12:13], 0x8
	s_load_dwordx4 s[20:23], s[4:5], 0x58
	s_load_dwordx2 s[28:29], s[4:5], 0x20
	s_load_dwordx4 s[24:27], s[14:15], 0x0
	s_mov_b32 s5, s30
	s_waitcnt lgkmcnt(0)
	s_add_i32 s0, s0, -1
	s_lshr_b32 s0, s0, 2
	s_mul_hi_u32 s0, s0, 0x24924925
	s_add_i32 s33, s0, 1
	v_cvt_f32_u32_e32 v1, s33
	s_sub_i32 s2, 0, s33
	s_load_dwordx4 s[16:19], s[28:29], 0x0
	v_cmp_gt_u64_e64 s[0:1], s[10:11], 2
	v_rcp_iflag_f32_e32 v1, v1
	v_mul_f32_e32 v1, 0x4f7ffffe, v1
	v_cvt_u32_f32_e32 v1, v1
	v_readfirstlane_b32 s3, v1
	s_mul_i32 s2, s2, s3
	s_mul_hi_u32 s2, s3, s2
	s_add_i32 s3, s3, s2
	s_mul_hi_u32 s2, s6, s3
	s_mul_i32 s3, s2, s33
	s_sub_i32 s3, s6, s3
	s_add_i32 s4, s2, 1
	s_sub_i32 s7, s3, s33
	s_cmp_ge_u32 s3, s33
	s_cselect_b32 s2, s4, s2
	s_cselect_b32 s3, s7, s3
	s_add_i32 s4, s2, 1
	s_cmp_ge_u32 s3, s33
	s_cselect_b32 s7, s4, s2
	s_and_b64 vcc, exec, s[0:1]
	s_mul_i32 s0, s7, s33
	s_sub_i32 s0, s6, s0
	s_mul_i32 s0, s0, 28
	s_waitcnt lgkmcnt(0)
	s_mul_i32 s1, s17, s0
	s_mul_hi_u32 s3, s16, s0
	s_mul_i32 s4, s0, s26
	s_mul_i32 s2, s16, s0
	s_add_i32 s3, s3, s1
	s_cbranch_vccz .LBB0_9
; %bb.1:
	v_mov_b32_e32 v1, s10
	s_mov_b32 s34, 3
	v_mov_b32_e32 v2, s11
.LBB0_2:                                ; =>This Inner Loop Header: Depth=1
	s_lshl_b64 s[36:37], s[36:37], 3
	s_add_u32 s0, s12, s36
	s_addc_u32 s1, s13, s37
	s_load_dwordx2 s[38:39], s[0:1], 0x0
	s_waitcnt lgkmcnt(0)
	s_mov_b32 s31, s39
	s_cmp_lg_u64 s[30:31], 0
	s_cbranch_scc0 .LBB0_7
; %bb.3:                                ;   in Loop: Header=BB0_2 Depth=1
	v_cvt_f32_u32_e32 v3, s38
	v_cvt_f32_u32_e32 v4, s39
	s_sub_u32 s0, 0, s38
	s_subb_u32 s1, 0, s39
	v_mac_f32_e32 v3, 0x4f800000, v4
	v_rcp_f32_e32 v3, v3
	v_mul_f32_e32 v3, 0x5f7ffffc, v3
	v_mul_f32_e32 v4, 0x2f800000, v3
	v_trunc_f32_e32 v4, v4
	v_mac_f32_e32 v3, 0xcf800000, v4
	v_cvt_u32_f32_e32 v4, v4
	v_cvt_u32_f32_e32 v3, v3
	v_readfirstlane_b32 s19, v4
	v_readfirstlane_b32 s27, v3
	s_mul_i32 s31, s0, s19
	s_mul_hi_u32 s40, s0, s27
	s_mul_i32 s35, s1, s27
	s_add_i32 s31, s40, s31
	s_mul_i32 s41, s0, s27
	s_add_i32 s31, s31, s35
	s_mul_hi_u32 s35, s27, s31
	s_mul_i32 s40, s27, s31
	s_mul_hi_u32 s27, s27, s41
	s_add_u32 s27, s27, s40
	s_addc_u32 s35, 0, s35
	s_mul_hi_u32 s42, s19, s41
	s_mul_i32 s41, s19, s41
	s_add_u32 s27, s27, s41
	s_mul_hi_u32 s40, s19, s31
	s_addc_u32 s27, s35, s42
	s_addc_u32 s35, s40, 0
	s_mul_i32 s31, s19, s31
	s_add_u32 s27, s27, s31
	s_addc_u32 s31, 0, s35
	v_add_co_u32_e32 v3, vcc, s27, v3
	s_cmp_lg_u64 vcc, 0
	s_addc_u32 s19, s19, s31
	v_readfirstlane_b32 s31, v3
	s_mul_i32 s27, s0, s19
	s_mul_hi_u32 s35, s0, s31
	s_add_i32 s27, s35, s27
	s_mul_i32 s1, s1, s31
	s_add_i32 s27, s27, s1
	s_mul_i32 s0, s0, s31
	s_mul_hi_u32 s35, s19, s0
	s_mul_i32 s40, s19, s0
	s_mul_i32 s42, s31, s27
	s_mul_hi_u32 s0, s31, s0
	s_mul_hi_u32 s41, s31, s27
	s_add_u32 s0, s0, s42
	s_addc_u32 s31, 0, s41
	s_add_u32 s0, s0, s40
	s_mul_hi_u32 s1, s19, s27
	s_addc_u32 s0, s31, s35
	s_addc_u32 s1, s1, 0
	s_mul_i32 s27, s19, s27
	s_add_u32 s0, s0, s27
	s_addc_u32 s1, 0, s1
	v_add_co_u32_e32 v3, vcc, s0, v3
	s_cmp_lg_u64 vcc, 0
	s_addc_u32 s0, s19, s1
	v_readfirstlane_b32 s19, v3
	s_mul_hi_u32 s1, s7, s0
	s_mul_i32 s0, s7, s0
	s_mul_hi_u32 s19, s7, s19
	s_add_u32 s0, s19, s0
	s_addc_u32 s19, 0, s1
	s_mul_i32 s0, s39, s19
	s_mul_hi_u32 s1, s38, s19
	s_add_i32 s27, s1, s0
	s_mul_i32 s1, s38, s19
	v_mov_b32_e32 v3, s1
	s_sub_i32 s0, 0, s27
	v_sub_co_u32_e32 v3, vcc, s7, v3
	s_cmp_lg_u64 vcc, 0
	s_subb_u32 s31, s0, s39
	v_subrev_co_u32_e64 v4, s[0:1], s38, v3
	s_cmp_lg_u64 s[0:1], 0
	s_subb_u32 s0, s31, 0
	s_cmp_ge_u32 s0, s39
	v_readfirstlane_b32 s31, v4
	s_cselect_b32 s1, -1, 0
	s_cmp_ge_u32 s31, s38
	s_cselect_b32 s31, -1, 0
	s_cmp_eq_u32 s0, s39
	s_cselect_b32 s0, s31, s1
	s_add_u32 s1, s19, 1
	s_addc_u32 s31, 0, 0
	s_add_u32 s35, s19, 2
	s_addc_u32 s40, 0, 0
	s_cmp_lg_u32 s0, 0
	s_cselect_b32 s0, s35, s1
	s_cselect_b32 s1, s40, s31
	s_cmp_lg_u64 vcc, 0
	s_subb_u32 s27, 0, s27
	s_cmp_ge_u32 s27, s39
	v_readfirstlane_b32 s35, v3
	s_cselect_b32 s31, -1, 0
	s_cmp_ge_u32 s35, s38
	s_cselect_b32 s35, -1, 0
	s_cmp_eq_u32 s27, s39
	s_cselect_b32 s27, s35, s31
	s_cmp_lg_u32 s27, 0
	s_cselect_b32 s1, s1, 0
	s_cselect_b32 s0, s0, s19
	s_cbranch_execnz .LBB0_5
.LBB0_4:                                ;   in Loop: Header=BB0_2 Depth=1
	v_cvt_f32_u32_e32 v3, s38
	s_sub_i32 s0, 0, s38
	v_rcp_iflag_f32_e32 v3, v3
	v_mul_f32_e32 v3, 0x4f7ffffe, v3
	v_cvt_u32_f32_e32 v3, v3
	v_readfirstlane_b32 s1, v3
	s_mul_i32 s0, s0, s1
	s_mul_hi_u32 s0, s1, s0
	s_add_i32 s1, s1, s0
	s_mul_hi_u32 s0, s7, s1
	s_mul_i32 s19, s0, s38
	s_sub_i32 s19, s7, s19
	s_add_i32 s1, s0, 1
	s_sub_i32 s27, s19, s38
	s_cmp_ge_u32 s19, s38
	s_cselect_b32 s0, s1, s0
	s_cselect_b32 s19, s27, s19
	s_add_i32 s1, s0, 1
	s_cmp_ge_u32 s19, s38
	s_cselect_b32 s0, s1, s0
	s_mov_b32 s1, s30
.LBB0_5:                                ;   in Loop: Header=BB0_2 Depth=1
	s_mul_i32 s19, s0, s39
	s_mul_hi_u32 s27, s0, s38
	s_add_i32 s19, s27, s19
	s_mul_i32 s1, s1, s38
	s_add_i32 s19, s19, s1
	s_mul_i32 s1, s0, s38
	s_sub_u32 s1, s7, s1
	s_subb_u32 s7, 0, s19
	s_add_u32 s40, s14, s36
	s_addc_u32 s41, s15, s37
	s_load_dwordx2 s[40:41], s[40:41], 0x0
	s_mov_b32 s35, s30
	v_cmp_ge_u64_e32 vcc, s[34:35], v[1:2]
	s_mul_i32 s33, s33, s38
	s_waitcnt lgkmcnt(0)
	s_mul_i32 s19, s40, s7
	s_mul_hi_u32 s27, s40, s1
	s_add_i32 s19, s27, s19
	s_mul_i32 s27, s41, s1
	s_add_i32 s19, s19, s27
	s_mul_i32 s27, s40, s1
	s_add_u32 s4, s27, s4
	s_addc_u32 s5, s19, s5
	s_add_u32 s36, s28, s36
	s_addc_u32 s37, s29, s37
	s_load_dwordx2 s[36:37], s[36:37], 0x0
	s_waitcnt lgkmcnt(0)
	s_mul_i32 s7, s36, s7
	s_mul_hi_u32 s19, s36, s1
	s_add_i32 s7, s19, s7
	s_mul_i32 s19, s37, s1
	s_add_i32 s7, s7, s19
	s_mul_i32 s1, s36, s1
	s_add_u32 s2, s1, s2
	s_addc_u32 s3, s7, s3
	s_mov_b64 s[36:37], s[34:35]
	s_add_i32 s34, s34, 1
	s_cbranch_vccnz .LBB0_8
; %bb.6:                                ;   in Loop: Header=BB0_2 Depth=1
	s_mov_b32 s7, s0
	s_branch .LBB0_2
.LBB0_7:                                ;   in Loop: Header=BB0_2 Depth=1
                                        ; implicit-def: $sgpr0_sgpr1
	s_branch .LBB0_4
.LBB0_8:
	v_cvt_f32_u32_e32 v1, s33
	s_sub_i32 s0, 0, s33
	v_rcp_iflag_f32_e32 v1, v1
	v_mul_f32_e32 v1, 0x4f7ffffe, v1
	v_cvt_u32_f32_e32 v1, v1
	v_readfirstlane_b32 s1, v1
	s_mul_i32 s0, s0, s1
	s_mul_hi_u32 s0, s1, s0
	s_add_i32 s1, s1, s0
	s_mul_hi_u32 s0, s6, s1
	s_mul_i32 s1, s0, s33
	s_sub_i32 s1, s6, s1
	s_add_i32 s7, s0, 1
	s_sub_i32 s6, s1, s33
	s_cmp_ge_u32 s1, s33
	s_cselect_b32 s0, s7, s0
	s_cselect_b32 s1, s6, s1
	s_add_i32 s6, s0, 1
	s_cmp_ge_u32 s1, s33
	s_cselect_b32 s7, s6, s0
.LBB0_9:
	s_lshl_b64 s[0:1], s[10:11], 3
	s_add_u32 s10, s14, s0
	s_addc_u32 s11, s15, s1
	s_load_dwordx2 s[10:11], s[10:11], 0x0
	v_mul_u32_u24_e32 v1, 0x53a, v0
	v_lshrrev_b32_e32 v31, 16, v1
	v_mul_lo_u16_e32 v1, 49, v31
	v_sub_u16_e32 v32, v0, v1
	s_waitcnt lgkmcnt(0)
	s_mul_i32 s6, s11, s7
	s_mul_hi_u32 s11, s10, s7
	s_add_i32 s11, s11, s6
	s_add_u32 s0, s28, s0
	v_mad_u64_u32 v[3:4], s[12:13], s24, v32, 0
	s_addc_u32 s1, s29, s1
	s_load_dwordx2 s[0:1], s[0:1], 0x0
	v_mov_b32_e32 v1, v4
	v_mad_u64_u32 v[1:2], s[12:13], s25, v32, v[1:2]
	s_mul_i32 s10, s10, s7
	s_waitcnt lgkmcnt(0)
	s_mul_i32 s1, s1, s7
	s_mul_hi_u32 s6, s0, s7
	s_add_i32 s1, s6, s1
	s_lshl_b64 s[10:11], s[10:11], 3
	s_add_u32 s6, s20, s10
	v_mov_b32_e32 v4, v1
	v_mul_lo_u32 v1, s26, v31
	s_addc_u32 s10, s21, s11
	s_lshl_b64 s[4:5], s[4:5], 3
	s_add_u32 s4, s6, s4
	v_lshlrev_b64 v[3:4], 3, v[3:4]
	s_addc_u32 s5, s10, s5
	v_mov_b32_e32 v2, 0
	v_mov_b32_e32 v5, s5
	v_add_co_u32_e32 v17, vcc, s4, v3
	v_addc_co_u32_e32 v18, vcc, v5, v4, vcc
	v_lshlrev_b64 v[3:4], 3, v[1:2]
	s_lshl_b32 s4, s26, 2
	v_add_u32_e32 v1, s4, v1
	v_add_co_u32_e32 v3, vcc, v17, v3
	v_lshlrev_b64 v[5:6], 3, v[1:2]
	v_addc_co_u32_e32 v4, vcc, v18, v4, vcc
	v_add_u32_e32 v1, s4, v1
	v_add_co_u32_e32 v5, vcc, v17, v5
	v_lshlrev_b64 v[7:8], 3, v[1:2]
	v_addc_co_u32_e32 v6, vcc, v18, v6, vcc
	;; [unrolled: 4-line block ×6, first 2 shown]
	v_add_co_u32_e32 v15, vcc, v17, v15
	v_addc_co_u32_e32 v16, vcc, v18, v16, vcc
	global_load_dwordx2 v[17:18], v[3:4], off
	global_load_dwordx2 v[19:20], v[5:6], off
	;; [unrolled: 1-line block ×7, first 2 shown]
	v_mul_u32_u24_e32 v1, 0x925, v0
	v_lshrrev_b32_e32 v1, 16, v1
	v_mul_lo_u16_e32 v4, 28, v1
	v_lshlrev_b32_e32 v3, 3, v31
	v_sub_u16_e32 v31, v0, v4
	v_mul_u32_u24_e32 v5, 0xe0, v1
	v_mul_lo_u16_e32 v4, 28, v32
	v_lshlrev_b32_e32 v6, 3, v31
	v_lshlrev_b32_e32 v4, 3, v4
	v_add3_u32 v32, 0, v5, v6
	v_add3_u32 v5, 0, v4, v3
	;; [unrolled: 1-line block ×3, first 2 shown]
	v_add_u32_e32 v33, 0xc00, v32
	v_add_u32_e32 v34, 0x1800, v32
	s_mov_b32 s5, 0x3f5ff5aa
	s_mov_b32 s4, 0xbf3bfb3b
	s_movk_i32 s6, 0x540
	s_mov_b32 s10, 0x3f3bfb3b
	v_mul_u32_u24_e32 v0, 0x14f, v0
	s_lshl_b64 s[2:3], s[2:3], 3
	s_mul_i32 s0, s0, s7
	s_add_u32 s2, s22, s2
	s_addc_u32 s3, s23, s3
	s_lshl_b64 s[0:1], s[0:1], 3
	s_add_u32 s0, s0, s2
	s_addc_u32 s1, s1, s3
	s_waitcnt vmcnt(6)
	ds_write_b64 v5, v[17:18]
	s_waitcnt vmcnt(4)
	ds_write2_b64 v3, v[19:20], v[21:22] offset0:4 offset1:8
	s_waitcnt vmcnt(2)
	ds_write2_b64 v3, v[23:24], v[25:26] offset0:12 offset1:16
	;; [unrolled: 2-line block ×3, first 2 shown]
	s_waitcnt lgkmcnt(0)
	s_barrier
	ds_read2_b64 v[3:6], v33 offset0:8 offset1:204
	ds_read2_b64 v[7:10], v34 offset0:16 offset1:212
	ds_read2_b64 v[11:14], v32 offset1:196
	ds_read_b64 v[15:16], v32 offset:9408
	v_mad_u32_u24 v27, v1, s6, v32
	s_waitcnt lgkmcnt(0)
	v_add_f32_e32 v17, v3, v9
	v_add_f32_e32 v19, v5, v7
	v_sub_f32_e32 v5, v7, v5
	v_add_f32_e32 v7, v13, v15
	v_add_f32_e32 v18, v4, v10
	v_sub_f32_e32 v9, v3, v9
	v_add_f32_e32 v20, v6, v8
	v_sub_f32_e32 v6, v8, v6
	v_add_f32_e32 v8, v14, v16
	v_add_f32_e32 v3, v17, v7
	v_sub_f32_e32 v13, v13, v15
	v_add_f32_e32 v15, v19, v3
	v_add_f32_e32 v3, v18, v8
	v_sub_f32_e32 v14, v14, v16
	v_add_f32_e32 v16, v20, v3
	v_add_f32_e32 v3, v15, v11
	v_sub_f32_e32 v10, v4, v10
	v_add_f32_e32 v4, v16, v12
	v_sub_f32_e32 v11, v17, v7
	v_sub_f32_e32 v7, v7, v19
	v_sub_f32_e32 v12, v19, v17
	v_add_f32_e32 v19, v5, v9
	v_mov_b32_e32 v23, v3
	v_sub_f32_e32 v17, v18, v8
	v_sub_f32_e32 v8, v8, v20
	;; [unrolled: 1-line block ×6, first 2 shown]
	v_add_f32_e32 v13, v19, v13
	v_add_f32_e32 v5, v6, v10
	v_sub_f32_e32 v19, v6, v10
	v_fmac_f32_e32 v23, 0xbf955555, v15
	v_mov_b32_e32 v15, v4
	v_sub_f32_e32 v22, v14, v6
	v_sub_f32_e32 v10, v10, v14
	v_add_f32_e32 v14, v5, v14
	v_fmac_f32_e32 v15, 0xbf955555, v16
	v_mul_f32_e32 v5, 0x3f4a47b2, v7
	v_mul_f32_e32 v6, 0x3f4a47b2, v8
	;; [unrolled: 1-line block ×4, first 2 shown]
	v_fma_f32 v7, v11, s4, -v5
	v_fmac_f32_e32 v5, 0x3d64c772, v12
	v_fma_f32 v8, v17, s4, -v6
	v_fmac_f32_e32 v6, 0x3d64c772, v18
	;; [unrolled: 2-line block ×4, first 2 shown]
	v_add_f32_e32 v25, v5, v23
	v_add_f32_e32 v26, v6, v15
	v_fmac_f32_e32 v16, 0x3ee1c552, v13
	v_fmac_f32_e32 v19, 0x3ee1c552, v14
	v_add_f32_e32 v5, v25, v19
	v_sub_f32_e32 v6, v26, v16
	s_barrier
	ds_write2_b64 v27, v[3:4], v[5:6] offset1:28
	v_mul_f32_e32 v3, 0x3d64c772, v12
	v_mul_f32_e32 v9, 0x3f5ff5aa, v9
	s_mov_b32 s6, 0xbeae86e6
	v_fma_f32 v3, v11, s10, -v3
	v_mul_f32_e32 v4, 0x3d64c772, v18
	v_fma_f32 v11, v21, s6, -v9
	v_mul_f32_e32 v9, 0x3f5ff5aa, v10
	v_fma_f32 v4, v17, s10, -v4
	v_fma_f32 v9, v22, s6, -v9
	v_add_f32_e32 v5, v3, v23
	v_add_f32_e32 v6, v4, v15
	v_fmac_f32_e32 v20, 0x3ee1c552, v13
	v_fmac_f32_e32 v24, 0x3ee1c552, v14
	v_add_f32_e32 v10, v7, v23
	v_add_f32_e32 v12, v8, v15
	v_fmac_f32_e32 v11, 0x3ee1c552, v13
	v_fmac_f32_e32 v9, 0x3ee1c552, v14
	v_sub_f32_e32 v3, v5, v24
	v_add_f32_e32 v4, v20, v6
	v_add_f32_e32 v7, v9, v10
	v_sub_f32_e32 v8, v12, v11
	v_add_f32_e32 v5, v24, v5
	v_sub_f32_e32 v6, v6, v20
	v_sub_f32_e32 v9, v10, v9
	v_add_f32_e32 v10, v11, v12
	v_sub_f32_e32 v11, v25, v19
	v_add_f32_e32 v12, v16, v26
	ds_write2_b64 v27, v[7:8], v[3:4] offset0:56 offset1:84
	ds_write2_b64 v27, v[5:6], v[9:10] offset0:112 offset1:140
	ds_write_b64 v27, v[11:12] offset:1344
	v_mul_lo_u16_e32 v3, 37, v1
	v_mov_b32_e32 v4, 7
	v_mul_lo_u16_sdwa v3, v3, v4 dst_sel:DWORD dst_unused:UNUSED_PAD src0_sel:BYTE_1 src1_sel:DWORD
	v_sub_u16_e32 v21, v1, v3
	v_mov_b32_e32 v1, 6
	v_mul_u32_u24_sdwa v1, v21, v1 dst_sel:DWORD dst_unused:UNUSED_PAD src0_sel:BYTE_0 src1_sel:DWORD
	v_lshlrev_b32_e32 v1, 3, v1
	s_waitcnt lgkmcnt(0)
	s_barrier
	global_load_dwordx4 v[3:6], v1, s[8:9] offset:32
	global_load_dwordx4 v[7:10], v1, s[8:9] offset:16
	global_load_dwordx4 v[11:14], v1, s[8:9]
	ds_read_b64 v[19:20], v32 offset:9408
	ds_read2_b64 v[15:18], v34 offset0:16 offset1:212
	s_waitcnt vmcnt(2) lgkmcnt(1)
	v_mul_f32_e32 v1, v6, v20
	v_fma_f32 v1, v5, v19, -v1
	v_mul_f32_e32 v19, v6, v19
	v_fmac_f32_e32 v19, v5, v20
	s_waitcnt lgkmcnt(0)
	v_mul_f32_e32 v5, v4, v18
	v_fma_f32 v20, v3, v17, -v5
	v_mul_f32_e32 v17, v4, v17
	v_fmac_f32_e32 v17, v3, v18
	ds_read2_b64 v[3:6], v33 offset0:8 offset1:204
	s_waitcnt vmcnt(1)
	v_mul_f32_e32 v18, v10, v16
	v_mul_f32_e32 v10, v10, v15
	v_fma_f32 v18, v9, v15, -v18
	v_fmac_f32_e32 v10, v9, v16
	s_waitcnt lgkmcnt(0)
	v_mul_f32_e32 v9, v8, v6
	v_mul_f32_e32 v15, v8, v5
	v_fma_f32 v9, v7, v5, -v9
	v_fmac_f32_e32 v15, v7, v6
	ds_read2_b64 v[5:8], v32 offset1:196
	s_waitcnt vmcnt(0)
	v_mul_f32_e32 v16, v14, v4
	v_fma_f32 v16, v13, v3, -v16
	v_mul_f32_e32 v14, v14, v3
	v_fmac_f32_e32 v14, v13, v4
	s_waitcnt lgkmcnt(0)
	v_mul_f32_e32 v3, v12, v8
	v_fma_f32 v13, v11, v7, -v3
	v_mul_f32_e32 v7, v12, v7
	v_fmac_f32_e32 v7, v11, v8
	v_add_f32_e32 v11, v13, v1
	v_add_f32_e32 v8, v16, v20
	;; [unrolled: 1-line block ×12, first 2 shown]
	v_sub_f32_e32 v1, v13, v1
	v_sub_f32_e32 v5, v16, v20
	;; [unrolled: 1-line block ×6, first 2 shown]
	v_mov_b32_e32 v14, v3
	v_sub_f32_e32 v16, v8, v11
	v_sub_f32_e32 v17, v12, v8
	v_add_f32_e32 v7, v9, v5
	v_sub_f32_e32 v8, v9, v5
	v_sub_f32_e32 v20, v5, v1
	v_add_f32_e32 v5, v10, v6
	v_sub_f32_e32 v11, v11, v12
	v_fmac_f32_e32 v14, 0xbf955555, v22
	v_sub_f32_e32 v18, v24, v23
	v_sub_f32_e32 v19, v25, v24
	;; [unrolled: 1-line block ×4, first 2 shown]
	v_add_f32_e32 v27, v5, v13
	v_mul_f32_e32 v5, 0x3d64c772, v17
	v_sub_f32_e32 v12, v23, v25
	v_mul_f32_e32 v23, 0x3f4a47b2, v11
	v_mov_b32_e32 v15, v4
	v_mul_f32_e32 v28, 0xbf08b237, v8
	v_mul_f32_e32 v22, 0xbf08b237, v22
	v_fma_f32 v5, v16, s10, -v5
	v_mul_f32_e32 v6, 0x3d64c772, v19
	v_sub_f32_e32 v13, v13, v10
	v_mul_f32_e32 v25, 0x3f4a47b2, v12
	v_mul_f32_e32 v10, 0x3f5ff5aa, v24
	v_fma_f32 v11, v16, s4, -v23
	v_fmac_f32_e32 v23, 0x3d64c772, v17
	v_fmac_f32_e32 v15, 0xbf955555, v26
	v_add_f32_e32 v26, v7, v1
	v_fma_f32 v6, v18, s10, -v6
	v_add_f32_e32 v7, v5, v14
	v_fma_f32 v29, v20, s5, -v28
	v_fma_f32 v30, v24, s5, -v22
	v_fma_f32 v12, v18, s4, -v25
	v_fma_f32 v18, v13, s6, -v10
	v_add_f32_e32 v11, v11, v14
	v_fmac_f32_e32 v25, 0x3d64c772, v19
	v_fmac_f32_e32 v22, 0x3eae86e6, v13
	v_add_f32_e32 v19, v23, v14
	v_mad_u64_u32 v[13:14], s[4:5], s16, v31, 0
	v_sub_f32_e32 v1, v1, v9
	v_mul_f32_e32 v9, 0x3f5ff5aa, v20
	v_fma_f32 v16, v1, s6, -v9
	v_fmac_f32_e32 v18, 0x3ee1c552, v27
	v_fmac_f32_e32 v28, 0x3eae86e6, v1
	v_mov_b32_e32 v1, v14
	v_add_f32_e32 v9, v18, v11
	v_sub_f32_e32 v11, v11, v18
	v_mad_u64_u32 v[17:18], s[4:5], s17, v31, v[1:2]
	v_mov_b32_e32 v1, 49
	v_mul_lo_u16_sdwa v0, v0, v1 dst_sel:DWORD dst_unused:UNUSED_PAD src0_sel:WORD_1 src1_sel:DWORD
	v_add_u32_sdwa v0, v21, v0 dst_sel:DWORD dst_unused:UNUSED_PAD src0_sel:BYTE_0 src1_sel:DWORD
	v_mov_b32_e32 v14, v17
	v_mul_lo_u32 v1, v0, s18
	v_lshlrev_b64 v[13:14], 3, v[13:14]
	v_add_f32_e32 v12, v12, v15
	v_fmac_f32_e32 v16, 0x3ee1c552, v26
	v_add_f32_e32 v20, v25, v15
	v_fmac_f32_e32 v28, 0x3ee1c552, v26
	v_fmac_f32_e32 v22, 0x3ee1c552, v27
	v_mov_b32_e32 v0, s1
	v_add_co_u32_e32 v17, vcc, s0, v13
	v_add_f32_e32 v8, v6, v15
	v_sub_f32_e32 v10, v12, v16
	v_add_f32_e32 v12, v16, v12
	v_add_f32_e32 v15, v22, v19
	v_sub_f32_e32 v16, v20, v28
	v_sub_f32_e32 v18, v19, v22
	v_add_f32_e32 v19, v28, v20
	v_addc_co_u32_e32 v20, vcc, v0, v14, vcc
	v_lshlrev_b64 v[13:14], 3, v[1:2]
	s_mul_i32 s0, s18, 7
	v_add_co_u32_e32 v13, vcc, v17, v13
	v_addc_co_u32_e32 v14, vcc, v20, v14, vcc
	v_add_u32_e32 v1, s0, v1
	global_store_dwordx2 v[13:14], v[3:4], off
	v_lshlrev_b64 v[3:4], 3, v[1:2]
	v_add_u32_e32 v1, s0, v1
	v_add_co_u32_e32 v3, vcc, v17, v3
	v_addc_co_u32_e32 v4, vcc, v20, v4, vcc
	global_store_dwordx2 v[3:4], v[15:16], off
	v_lshlrev_b64 v[3:4], 3, v[1:2]
	v_add_u32_e32 v1, s0, v1
	v_add_co_u32_e32 v3, vcc, v17, v3
	v_addc_co_u32_e32 v4, vcc, v20, v4, vcc
	global_store_dwordx2 v[3:4], v[9:10], off
	v_lshlrev_b64 v[3:4], 3, v[1:2]
	v_fmac_f32_e32 v29, 0x3ee1c552, v26
	v_fmac_f32_e32 v30, 0x3ee1c552, v27
	v_add_co_u32_e32 v3, vcc, v17, v3
	v_sub_f32_e32 v5, v7, v30
	v_add_f32_e32 v6, v29, v8
	v_addc_co_u32_e32 v4, vcc, v20, v4, vcc
	v_add_u32_e32 v1, s0, v1
	global_store_dwordx2 v[3:4], v[5:6], off
	v_lshlrev_b64 v[3:4], 3, v[1:2]
	v_add_f32_e32 v7, v30, v7
	v_add_co_u32_e32 v3, vcc, v17, v3
	v_sub_f32_e32 v8, v8, v29
	v_addc_co_u32_e32 v4, vcc, v20, v4, vcc
	v_add_u32_e32 v1, s0, v1
	global_store_dwordx2 v[3:4], v[7:8], off
	v_lshlrev_b64 v[3:4], 3, v[1:2]
	v_add_u32_e32 v1, s0, v1
	v_add_co_u32_e32 v3, vcc, v17, v3
	v_lshlrev_b64 v[0:1], 3, v[1:2]
	v_addc_co_u32_e32 v4, vcc, v20, v4, vcc
	v_add_co_u32_e32 v0, vcc, v17, v0
	v_addc_co_u32_e32 v1, vcc, v20, v1, vcc
	global_store_dwordx2 v[3:4], v[11:12], off
	global_store_dwordx2 v[0:1], v[18:19], off
	s_endpgm
	.section	.rodata,"a",@progbits
	.p2align	6, 0x0
	.amdhsa_kernel fft_rtc_fwd_len49_factors_7_7_wgs_196_tpt_7_sp_op_CI_CI_sbrc_aligned_dirReg
		.amdhsa_group_segment_fixed_size 0
		.amdhsa_private_segment_fixed_size 0
		.amdhsa_kernarg_size 104
		.amdhsa_user_sgpr_count 6
		.amdhsa_user_sgpr_private_segment_buffer 1
		.amdhsa_user_sgpr_dispatch_ptr 0
		.amdhsa_user_sgpr_queue_ptr 0
		.amdhsa_user_sgpr_kernarg_segment_ptr 1
		.amdhsa_user_sgpr_dispatch_id 0
		.amdhsa_user_sgpr_flat_scratch_init 0
		.amdhsa_user_sgpr_private_segment_size 0
		.amdhsa_uses_dynamic_stack 0
		.amdhsa_system_sgpr_private_segment_wavefront_offset 0
		.amdhsa_system_sgpr_workgroup_id_x 1
		.amdhsa_system_sgpr_workgroup_id_y 0
		.amdhsa_system_sgpr_workgroup_id_z 0
		.amdhsa_system_sgpr_workgroup_info 0
		.amdhsa_system_vgpr_workitem_id 0
		.amdhsa_next_free_vgpr 35
		.amdhsa_next_free_sgpr 43
		.amdhsa_reserve_vcc 1
		.amdhsa_reserve_flat_scratch 0
		.amdhsa_float_round_mode_32 0
		.amdhsa_float_round_mode_16_64 0
		.amdhsa_float_denorm_mode_32 3
		.amdhsa_float_denorm_mode_16_64 3
		.amdhsa_dx10_clamp 1
		.amdhsa_ieee_mode 1
		.amdhsa_fp16_overflow 0
		.amdhsa_exception_fp_ieee_invalid_op 0
		.amdhsa_exception_fp_denorm_src 0
		.amdhsa_exception_fp_ieee_div_zero 0
		.amdhsa_exception_fp_ieee_overflow 0
		.amdhsa_exception_fp_ieee_underflow 0
		.amdhsa_exception_fp_ieee_inexact 0
		.amdhsa_exception_int_div_zero 0
	.end_amdhsa_kernel
	.text
.Lfunc_end0:
	.size	fft_rtc_fwd_len49_factors_7_7_wgs_196_tpt_7_sp_op_CI_CI_sbrc_aligned_dirReg, .Lfunc_end0-fft_rtc_fwd_len49_factors_7_7_wgs_196_tpt_7_sp_op_CI_CI_sbrc_aligned_dirReg
                                        ; -- End function
	.section	.AMDGPU.csdata,"",@progbits
; Kernel info:
; codeLenInByte = 3116
; NumSgprs: 47
; NumVgprs: 35
; ScratchSize: 0
; MemoryBound: 0
; FloatMode: 240
; IeeeMode: 1
; LDSByteSize: 0 bytes/workgroup (compile time only)
; SGPRBlocks: 5
; VGPRBlocks: 8
; NumSGPRsForWavesPerEU: 47
; NumVGPRsForWavesPerEU: 35
; Occupancy: 7
; WaveLimiterHint : 1
; COMPUTE_PGM_RSRC2:SCRATCH_EN: 0
; COMPUTE_PGM_RSRC2:USER_SGPR: 6
; COMPUTE_PGM_RSRC2:TRAP_HANDLER: 0
; COMPUTE_PGM_RSRC2:TGID_X_EN: 1
; COMPUTE_PGM_RSRC2:TGID_Y_EN: 0
; COMPUTE_PGM_RSRC2:TGID_Z_EN: 0
; COMPUTE_PGM_RSRC2:TIDIG_COMP_CNT: 0
	.type	__hip_cuid_dee0c9ae4e714f20,@object ; @__hip_cuid_dee0c9ae4e714f20
	.section	.bss,"aw",@nobits
	.globl	__hip_cuid_dee0c9ae4e714f20
__hip_cuid_dee0c9ae4e714f20:
	.byte	0                               ; 0x0
	.size	__hip_cuid_dee0c9ae4e714f20, 1

	.ident	"AMD clang version 19.0.0git (https://github.com/RadeonOpenCompute/llvm-project roc-6.4.0 25133 c7fe45cf4b819c5991fe208aaa96edf142730f1d)"
	.section	".note.GNU-stack","",@progbits
	.addrsig
	.addrsig_sym __hip_cuid_dee0c9ae4e714f20
	.amdgpu_metadata
---
amdhsa.kernels:
  - .args:
      - .actual_access:  read_only
        .address_space:  global
        .offset:         0
        .size:           8
        .value_kind:     global_buffer
      - .offset:         8
        .size:           8
        .value_kind:     by_value
      - .actual_access:  read_only
        .address_space:  global
        .offset:         16
        .size:           8
        .value_kind:     global_buffer
      - .actual_access:  read_only
        .address_space:  global
        .offset:         24
        .size:           8
        .value_kind:     global_buffer
      - .actual_access:  read_only
        .address_space:  global
        .offset:         32
        .size:           8
        .value_kind:     global_buffer
      - .offset:         40
        .size:           8
        .value_kind:     by_value
      - .actual_access:  read_only
        .address_space:  global
        .offset:         48
        .size:           8
        .value_kind:     global_buffer
      - .actual_access:  read_only
        .address_space:  global
        .offset:         56
        .size:           8
        .value_kind:     global_buffer
      - .offset:         64
        .size:           4
        .value_kind:     by_value
      - .actual_access:  read_only
        .address_space:  global
        .offset:         72
        .size:           8
        .value_kind:     global_buffer
      - .actual_access:  read_only
        .address_space:  global
        .offset:         80
        .size:           8
        .value_kind:     global_buffer
      - .actual_access:  read_only
        .address_space:  global
        .offset:         88
        .size:           8
        .value_kind:     global_buffer
      - .actual_access:  write_only
        .address_space:  global
        .offset:         96
        .size:           8
        .value_kind:     global_buffer
    .group_segment_fixed_size: 0
    .kernarg_segment_align: 8
    .kernarg_segment_size: 104
    .language:       OpenCL C
    .language_version:
      - 2
      - 0
    .max_flat_workgroup_size: 196
    .name:           fft_rtc_fwd_len49_factors_7_7_wgs_196_tpt_7_sp_op_CI_CI_sbrc_aligned_dirReg
    .private_segment_fixed_size: 0
    .sgpr_count:     47
    .sgpr_spill_count: 0
    .symbol:         fft_rtc_fwd_len49_factors_7_7_wgs_196_tpt_7_sp_op_CI_CI_sbrc_aligned_dirReg.kd
    .uniform_work_group_size: 1
    .uses_dynamic_stack: false
    .vgpr_count:     35
    .vgpr_spill_count: 0
    .wavefront_size: 64
amdhsa.target:   amdgcn-amd-amdhsa--gfx906
amdhsa.version:
  - 1
  - 2
...

	.end_amdgpu_metadata
